;; amdgpu-corpus repo=ROCm/rocFFT kind=compiled arch=gfx950 opt=O3
	.text
	.amdgcn_target "amdgcn-amd-amdhsa--gfx950"
	.amdhsa_code_object_version 6
	.protected	fft_rtc_fwd_len22_factors_11_2_wgs_64_tpt_2_halfLds_sp_op_CI_CI_unitstride_sbrr_R2C_dirReg ; -- Begin function fft_rtc_fwd_len22_factors_11_2_wgs_64_tpt_2_halfLds_sp_op_CI_CI_unitstride_sbrr_R2C_dirReg
	.globl	fft_rtc_fwd_len22_factors_11_2_wgs_64_tpt_2_halfLds_sp_op_CI_CI_unitstride_sbrr_R2C_dirReg
	.p2align	8
	.type	fft_rtc_fwd_len22_factors_11_2_wgs_64_tpt_2_halfLds_sp_op_CI_CI_unitstride_sbrr_R2C_dirReg,@function
fft_rtc_fwd_len22_factors_11_2_wgs_64_tpt_2_halfLds_sp_op_CI_CI_unitstride_sbrr_R2C_dirReg: ; @fft_rtc_fwd_len22_factors_11_2_wgs_64_tpt_2_halfLds_sp_op_CI_CI_unitstride_sbrr_R2C_dirReg
; %bb.0:
	s_load_dwordx4 s[4:7], s[0:1], 0x58
	s_load_dwordx4 s[8:11], s[0:1], 0x0
	;; [unrolled: 1-line block ×3, first 2 shown]
	v_lshrrev_b32_e32 v1, 1, v0
	v_lshl_or_b32 v6, s2, 5, v1
	v_mov_b32_e32 v4, 0
	s_waitcnt lgkmcnt(0)
	v_cmp_lt_u64_e64 s[2:3], s[10:11], 2
	v_mov_b32_e32 v7, v4
	s_and_b64 vcc, exec, s[2:3]
	v_mov_b64_e32 v[2:3], 0
	s_cbranch_vccnz .LBB0_8
; %bb.1:
	s_load_dwordx2 s[2:3], s[0:1], 0x10
	s_add_u32 s16, s14, 8
	s_addc_u32 s17, s15, 0
	s_add_u32 s18, s12, 8
	s_addc_u32 s19, s13, 0
	s_waitcnt lgkmcnt(0)
	s_add_u32 s20, s2, 8
	v_mov_b64_e32 v[2:3], 0
	s_addc_u32 s21, s3, 0
	s_mov_b64 s[22:23], 1
	v_mov_b64_e32 v[12:13], v[2:3]
.LBB0_2:                                ; =>This Inner Loop Header: Depth=1
	s_load_dwordx2 s[24:25], s[20:21], 0x0
                                        ; implicit-def: $vgpr14_vgpr15
	s_waitcnt lgkmcnt(0)
	v_or_b32_e32 v5, s25, v7
	v_cmp_ne_u64_e32 vcc, 0, v[4:5]
	s_and_saveexec_b64 s[2:3], vcc
	s_xor_b64 s[26:27], exec, s[2:3]
	s_cbranch_execz .LBB0_4
; %bb.3:                                ;   in Loop: Header=BB0_2 Depth=1
	v_cvt_f32_u32_e32 v5, s24
	v_cvt_f32_u32_e32 v8, s25
	s_sub_u32 s2, 0, s24
	s_subb_u32 s3, 0, s25
	v_fmac_f32_e32 v5, 0x4f800000, v8
	v_rcp_f32_e32 v5, v5
	s_nop 0
	v_mul_f32_e32 v5, 0x5f7ffffc, v5
	v_mul_f32_e32 v8, 0x2f800000, v5
	v_trunc_f32_e32 v8, v8
	v_fmac_f32_e32 v5, 0xcf800000, v8
	v_cvt_u32_f32_e32 v14, v8
	v_cvt_u32_f32_e32 v5, v5
	v_mul_lo_u32 v8, s2, v14
	v_mul_hi_u32 v10, s2, v5
	v_mul_lo_u32 v9, s3, v5
	v_add_u32_e32 v10, v10, v8
	v_mul_lo_u32 v15, s2, v5
	v_add_u32_e32 v16, v10, v9
	v_mul_hi_u32 v8, v5, v15
	v_mul_hi_u32 v11, v5, v16
	v_mul_lo_u32 v10, v5, v16
	v_mov_b32_e32 v9, v4
	v_lshl_add_u64 v[8:9], v[8:9], 0, v[10:11]
	v_mul_hi_u32 v11, v14, v15
	v_mul_lo_u32 v15, v14, v15
	v_add_co_u32_e32 v8, vcc, v8, v15
	v_mul_hi_u32 v10, v14, v16
	s_nop 0
	v_addc_co_u32_e32 v8, vcc, v9, v11, vcc
	v_mov_b32_e32 v9, v4
	s_nop 0
	v_addc_co_u32_e32 v11, vcc, 0, v10, vcc
	v_mul_lo_u32 v10, v14, v16
	v_lshl_add_u64 v[8:9], v[8:9], 0, v[10:11]
	v_add_co_u32_e32 v5, vcc, v5, v8
	v_mul_lo_u32 v10, s2, v5
	s_nop 0
	v_addc_co_u32_e32 v14, vcc, v14, v9, vcc
	v_mul_lo_u32 v8, s2, v14
	v_mul_hi_u32 v9, s2, v5
	v_add_u32_e32 v8, v9, v8
	v_mul_lo_u32 v9, s3, v5
	v_add_u32_e32 v15, v8, v9
	v_mul_hi_u32 v17, v14, v10
	v_mul_lo_u32 v18, v14, v10
	v_mul_hi_u32 v9, v5, v15
	v_mul_lo_u32 v8, v5, v15
	v_mul_hi_u32 v10, v5, v10
	v_mov_b32_e32 v11, v4
	v_lshl_add_u64 v[8:9], v[10:11], 0, v[8:9]
	v_add_co_u32_e32 v8, vcc, v8, v18
	v_mul_hi_u32 v16, v14, v15
	s_nop 0
	v_addc_co_u32_e32 v8, vcc, v9, v17, vcc
	v_mul_lo_u32 v10, v14, v15
	s_nop 0
	v_addc_co_u32_e32 v11, vcc, 0, v16, vcc
	v_mov_b32_e32 v9, v4
	v_lshl_add_u64 v[8:9], v[8:9], 0, v[10:11]
	v_add_co_u32_e32 v5, vcc, v5, v8
	v_mul_hi_u32 v10, v6, v5
	s_nop 0
	v_addc_co_u32_e32 v14, vcc, v14, v9, vcc
	v_mad_u64_u32 v[8:9], s[2:3], v6, v14, 0
	v_mov_b32_e32 v11, v4
	v_lshl_add_u64 v[8:9], v[10:11], 0, v[8:9]
	v_mad_u64_u32 v[10:11], s[2:3], v7, v14, 0
	v_mad_u64_u32 v[14:15], s[2:3], v7, v5, 0
	v_add_co_u32_e32 v5, vcc, v8, v14
	s_nop 1
	v_addc_co_u32_e32 v8, vcc, v9, v15, vcc
	v_mov_b32_e32 v9, v4
	s_nop 0
	v_addc_co_u32_e32 v11, vcc, 0, v11, vcc
	v_lshl_add_u64 v[8:9], v[8:9], 0, v[10:11]
	v_mul_lo_u32 v5, s25, v8
	v_mul_lo_u32 v14, s24, v9
	v_mad_u64_u32 v[10:11], s[2:3], s24, v8, 0
	v_add3_u32 v5, v11, v14, v5
	v_sub_u32_e32 v11, v7, v5
	v_mov_b32_e32 v14, s25
	v_sub_co_u32_e32 v16, vcc, v6, v10
	s_nop 1
	v_subb_co_u32_e64 v10, s[2:3], v11, v14, vcc
	v_subrev_co_u32_e64 v11, s[2:3], s24, v16
	v_subb_co_u32_e32 v5, vcc, v7, v5, vcc
	s_nop 0
	v_subbrev_co_u32_e64 v10, s[2:3], 0, v10, s[2:3]
	v_cmp_le_u32_e64 s[2:3], s25, v10
	v_cmp_le_u32_e32 vcc, s25, v5
	s_nop 0
	v_cndmask_b32_e64 v14, 0, -1, s[2:3]
	v_cmp_le_u32_e64 s[2:3], s24, v11
	s_nop 1
	v_cndmask_b32_e64 v11, 0, -1, s[2:3]
	v_cmp_eq_u32_e64 s[2:3], s25, v10
	s_nop 1
	v_cndmask_b32_e64 v17, v14, v11, s[2:3]
	v_lshl_add_u64 v[10:11], v[8:9], 0, 2
	v_lshl_add_u64 v[14:15], v[8:9], 0, 1
	v_cmp_ne_u32_e64 s[2:3], 0, v17
	s_nop 1
	v_cndmask_b32_e64 v11, v15, v11, s[2:3]
	v_cndmask_b32_e64 v15, 0, -1, vcc
	v_cmp_le_u32_e32 vcc, s24, v16
	s_nop 1
	v_cndmask_b32_e64 v16, 0, -1, vcc
	v_cmp_eq_u32_e32 vcc, s25, v5
	s_nop 1
	v_cndmask_b32_e32 v5, v15, v16, vcc
	v_cmp_ne_u32_e32 vcc, 0, v5
	v_cndmask_b32_e64 v5, v14, v10, s[2:3]
	s_nop 0
	v_cndmask_b32_e32 v15, v9, v11, vcc
	v_cndmask_b32_e32 v14, v8, v5, vcc
.LBB0_4:                                ;   in Loop: Header=BB0_2 Depth=1
	s_andn2_saveexec_b64 s[2:3], s[26:27]
	s_cbranch_execz .LBB0_6
; %bb.5:                                ;   in Loop: Header=BB0_2 Depth=1
	v_cvt_f32_u32_e32 v5, s24
	s_sub_i32 s26, 0, s24
	v_mov_b32_e32 v15, v4
	v_rcp_iflag_f32_e32 v5, v5
	s_nop 0
	v_mul_f32_e32 v5, 0x4f7ffffe, v5
	v_cvt_u32_f32_e32 v5, v5
	v_mul_lo_u32 v8, s26, v5
	v_mul_hi_u32 v8, v5, v8
	v_add_u32_e32 v5, v5, v8
	v_mul_hi_u32 v5, v6, v5
	v_mul_lo_u32 v8, v5, s24
	v_sub_u32_e32 v8, v6, v8
	v_add_u32_e32 v9, 1, v5
	v_subrev_u32_e32 v10, s24, v8
	v_cmp_le_u32_e32 vcc, s24, v8
	s_nop 1
	v_cndmask_b32_e32 v8, v8, v10, vcc
	v_cndmask_b32_e32 v5, v5, v9, vcc
	v_add_u32_e32 v9, 1, v5
	v_cmp_le_u32_e32 vcc, s24, v8
	s_nop 1
	v_cndmask_b32_e32 v14, v5, v9, vcc
.LBB0_6:                                ;   in Loop: Header=BB0_2 Depth=1
	s_or_b64 exec, exec, s[2:3]
	v_mad_u64_u32 v[8:9], s[2:3], v14, s24, 0
	s_load_dwordx2 s[2:3], s[18:19], 0x0
	v_mul_lo_u32 v5, v15, s24
	v_mul_lo_u32 v10, v14, s25
	s_load_dwordx2 s[24:25], s[16:17], 0x0
	s_add_u32 s22, s22, 1
	v_add3_u32 v5, v9, v10, v5
	v_sub_co_u32_e32 v6, vcc, v6, v8
	s_addc_u32 s23, s23, 0
	s_nop 0
	v_subb_co_u32_e32 v5, vcc, v7, v5, vcc
	s_add_u32 s16, s16, 8
	s_waitcnt lgkmcnt(0)
	v_mul_lo_u32 v7, s2, v5
	v_mul_lo_u32 v8, s3, v6
	v_mad_u64_u32 v[2:3], s[2:3], s2, v6, v[2:3]
	s_addc_u32 s17, s17, 0
	v_add3_u32 v3, v8, v3, v7
	v_mul_lo_u32 v5, s24, v5
	v_mul_lo_u32 v7, s25, v6
	v_mad_u64_u32 v[12:13], s[2:3], s24, v6, v[12:13]
	s_add_u32 s18, s18, 8
	v_add3_u32 v13, v7, v13, v5
	s_addc_u32 s19, s19, 0
	v_mov_b64_e32 v[6:7], s[10:11]
	s_add_u32 s20, s20, 8
	v_cmp_ge_u64_e32 vcc, s[22:23], v[6:7]
	s_addc_u32 s21, s21, 0
	s_cbranch_vccnz .LBB0_9
; %bb.7:                                ;   in Loop: Header=BB0_2 Depth=1
	v_mov_b64_e32 v[6:7], v[14:15]
	s_branch .LBB0_2
.LBB0_8:
	v_mov_b64_e32 v[12:13], v[2:3]
	v_mov_b64_e32 v[14:15], v[6:7]
.LBB0_9:
	s_load_dwordx2 s[0:1], s[0:1], 0x28
	s_lshl_b64 s[10:11], s[10:11], 3
	s_add_u32 s2, s14, s10
	s_addc_u32 s3, s15, s11
	v_and_b32_e32 v16, 1, v0
	s_waitcnt lgkmcnt(0)
	v_cmp_gt_u64_e32 vcc, s[0:1], v[14:15]
	v_cmp_le_u64_e64 s[0:1], s[0:1], v[14:15]
                                        ; implicit-def: $vgpr24
                                        ; implicit-def: $vgpr22
                                        ; implicit-def: $vgpr20
                                        ; implicit-def: $vgpr18
	s_and_saveexec_b64 s[14:15], s[0:1]
	s_xor_b64 s[0:1], exec, s[14:15]
; %bb.10:
	v_and_b32_e32 v16, 1, v0
	v_or_b32_e32 v24, 2, v16
	v_or_b32_e32 v22, 4, v16
	;; [unrolled: 1-line block ×4, first 2 shown]
                                        ; implicit-def: $vgpr2_vgpr3
; %bb.11:
	s_or_saveexec_b64 s[0:1], s[0:1]
	v_mul_u32_u24_e32 v0, 23, v1
	v_lshlrev_b32_e32 v0, 3, v0
	s_xor_b64 exec, exec, s[0:1]
	s_cbranch_execz .LBB0_13
; %bb.12:
	s_add_u32 s10, s12, s10
	s_addc_u32 s11, s13, s11
	s_load_dwordx2 s[10:11], s[10:11], 0x0
	v_lshlrev_b32_e32 v4, 3, v16
	v_or_b32_e32 v24, 2, v16
	v_or_b32_e32 v22, 4, v16
	;; [unrolled: 1-line block ×3, first 2 shown]
	s_waitcnt lgkmcnt(0)
	v_mul_lo_u32 v1, s11, v14
	v_mul_lo_u32 v5, s10, v15
	v_mad_u64_u32 v[6:7], s[10:11], s10, v14, 0
	v_add3_u32 v7, v7, v5, v1
	v_lshl_add_u64 v[6:7], v[6:7], 3, s[4:5]
	v_lshl_add_u64 v[2:3], v[2:3], 3, v[6:7]
	v_mov_b32_e32 v5, 0
	v_lshl_add_u64 v[2:3], v[2:3], 0, v[4:5]
	global_load_dwordx2 v[6:7], v[2:3], off
	global_load_dwordx2 v[8:9], v[2:3], off offset:16
	global_load_dwordx2 v[10:11], v[2:3], off offset:32
	;; [unrolled: 1-line block ×10, first 2 shown]
	v_or_b32_e32 v18, 8, v16
	v_add3_u32 v1, 0, v0, v4
	s_waitcnt vmcnt(9)
	ds_write2_b64 v1, v[6:7], v[8:9] offset1:2
	s_waitcnt vmcnt(7)
	ds_write2_b64 v1, v[10:11], v[26:27] offset0:4 offset1:6
	s_waitcnt vmcnt(5)
	ds_write2_b64 v1, v[28:29], v[30:31] offset0:8 offset1:10
	;; [unrolled: 2-line block ×4, first 2 shown]
	s_waitcnt vmcnt(0)
	ds_write_b64 v1, v[40:41] offset:160
.LBB0_13:
	s_or_b64 exec, exec, s[0:1]
	v_lshlrev_b32_e32 v48, 3, v16
	v_add_u32_e32 v46, 0, v0
	v_add3_u32 v49, 0, v48, v0
	s_load_dwordx2 s[4:5], s[2:3], 0x0
	s_waitcnt lgkmcnt(0)
	; wave barrier
	s_waitcnt lgkmcnt(0)
	v_add_u32_e32 v47, v46, v48
	ds_read2_b64 v[26:29], v49 offset0:2 offset1:4
	ds_read2_b64 v[42:45], v49 offset0:18 offset1:20
	ds_read_b64 v[2:3], v47
	ds_read2_b64 v[50:53], v49 offset0:6 offset1:8
	ds_read2_b64 v[54:57], v49 offset0:10 offset1:12
	;; [unrolled: 1-line block ×3, first 2 shown]
	s_mov_b32 s14, 0xbf4178ce
	s_waitcnt lgkmcnt(3)
	v_pk_add_f32 v[10:11], v[2:3], v[26:27]
	v_pk_add_f32 v[30:31], v[42:43], v[28:29]
	;; [unrolled: 1-line block ×3, first 2 shown]
	s_waitcnt lgkmcnt(0)
	v_pk_add_f32 v[36:37], v[60:61], v[50:51]
	v_pk_add_f32 v[10:11], v[10:11], v[50:51]
	v_pk_add_f32 v[38:39], v[50:51], v[60:61] neg_lo:[0,1] neg_hi:[0,1]
	v_pk_add_f32 v[10:11], v[10:11], v[52:53]
	v_pk_add_f32 v[50:51], v[52:53], v[58:59] neg_lo:[0,1] neg_hi:[0,1]
	;; [unrolled: 2-line block ×3, first 2 shown]
	v_pk_add_f32 v[10:11], v[10:11], v[56:57]
	v_pk_add_f32 v[40:41], v[58:59], v[52:53]
	;; [unrolled: 1-line block ×3, first 2 shown]
	s_mov_b32 s12, 0xbf27a4f4
	v_pk_mul_f32 v[28:29], v[50:51], s[14:15] op_sel_hi:[1,0]
	v_pk_add_f32 v[52:53], v[10:11], v[60:61]
	v_pk_fma_f32 v[10:11], v[40:41], s[12:13], v[28:29] op_sel:[0,0,1] op_sel_hi:[1,0,0]
	v_pk_fma_f32 v[58:59], v[40:41], s[12:13], v[28:29] op_sel:[0,0,1] op_sel_hi:[1,0,0] neg_lo:[0,0,1] neg_hi:[0,0,1]
	v_pk_add_f32 v[60:61], v[56:57], v[54:55]
	v_pk_add_f32 v[54:55], v[54:55], v[56:57] neg_lo:[0,1] neg_hi:[0,1]
	v_pk_add_f32 v[28:29], v[52:53], v[42:43]
	v_pk_add_f32 v[56:57], v[26:27], v[44:45] neg_lo:[0,1] neg_hi:[0,1]
	s_mov_b32 s22, 0xbf0a6770
	s_mov_b32 s24, 0xbf68dda4
	v_pk_add_f32 v[42:43], v[28:29], v[44:45]
	v_pk_add_f32 v[52:53], v[44:45], v[26:27]
	s_mov_b32 s16, 0x3f575c64
	v_pk_mul_f32 v[28:29], v[56:57], s[22:23] op_sel_hi:[1,0]
	s_mov_b32 s0, 0x3ed4b147
	v_pk_mul_f32 v[0:1], v[32:33], s[24:25] op_sel_hi:[1,0]
	s_mov_b32 s10, 0xbf7d64f0
	v_pk_fma_f32 v[26:27], v[52:53], s[16:17], v[28:29] op_sel:[0,0,1] op_sel_hi:[1,0,0]
	v_pk_fma_f32 v[44:45], v[52:53], s[16:17], v[28:29] op_sel:[0,0,1] op_sel_hi:[1,0,0] neg_lo:[0,0,1] neg_hi:[0,0,1]
	v_pk_fma_f32 v[4:5], v[30:31], s[0:1], v[0:1] op_sel:[0,0,1] op_sel_hi:[1,0,0]
	v_pk_fma_f32 v[34:35], v[30:31], s[0:1], v[0:1] op_sel:[0,0,1] op_sel_hi:[1,0,0] neg_lo:[0,0,1] neg_hi:[0,0,1]
	s_mov_b32 s2, 0xbe11bafb
	v_pk_mul_f32 v[6:7], v[38:39], s[10:11] op_sel_hi:[1,0]
	v_mov_b32_e32 v29, v45
	v_mov_b32_e32 v45, v27
	;; [unrolled: 1-line block ×3, first 2 shown]
	v_pk_fma_f32 v[8:9], v[36:37], s[2:3], v[6:7] op_sel:[0,0,1] op_sel_hi:[1,0,0]
	v_pk_fma_f32 v[62:63], v[36:37], s[2:3], v[6:7] op_sel:[0,0,1] op_sel_hi:[1,0,0] neg_lo:[0,0,1] neg_hi:[0,0,1]
	v_mov_b32_e32 v35, v5
	v_pk_add_f32 v[44:45], v[2:3], v[44:45]
	v_mov_b32_e32 v7, v63
	v_pk_add_f32 v[34:35], v[34:35], v[44:45]
	s_mov_b32 s20, 0xbe903f40
	v_mov_b32_e32 v63, v9
	v_mov_b32_e32 v5, v59
	s_mov_b32 s18, 0xbf75a155
	v_pk_add_f32 v[34:35], v[62:63], v[34:35]
	v_pk_mul_f32 v[62:63], v[54:55], s[20:21] op_sel_hi:[1,0]
	v_mov_b32_e32 v59, v11
	v_pk_add_f32 v[34:35], v[58:59], v[34:35]
	v_pk_fma_f32 v[44:45], v[60:61], s[18:19], v[62:63] op_sel:[0,0,1] op_sel_hi:[1,0,0]
	v_pk_fma_f32 v[58:59], v[60:61], s[18:19], v[62:63] op_sel:[0,0,1] op_sel_hi:[1,0,0] neg_lo:[0,0,1] neg_hi:[0,0,1]
	s_movk_i32 s1, 0x50
	v_mov_b32_e32 v9, v59
	v_mov_b32_e32 v59, v45
	v_pk_add_f32 v[34:35], v[58:59], v[34:35]
	v_mad_u32_u24 v17, v16, s1, v49
	v_pk_mul_f32 v[62:63], v[56:57], s[24:25] op_sel_hi:[1,0]
	s_waitcnt lgkmcnt(0)
	; wave barrier
	ds_write2_b64 v17, v[42:43], v[34:35] offset1:1
	v_pk_mul_f32 v[34:35], v[32:33], s[14:15] op_sel_hi:[1,0]
	v_pk_fma_f32 v[64:65], v[52:53], s[0:1], v[62:63] op_sel:[0,0,1] op_sel_hi:[1,0,0] neg_lo:[0,0,1] neg_hi:[0,0,1]
	v_pk_fma_f32 v[62:63], v[52:53], s[0:1], v[62:63] op_sel:[0,0,1] op_sel_hi:[1,0,0]
	v_pk_fma_f32 v[42:43], v[30:31], s[12:13], v[34:35] op_sel:[0,0,1] op_sel_hi:[1,0,0] neg_lo:[0,0,1] neg_hi:[0,0,1]
	v_pk_fma_f32 v[34:35], v[30:31], s[12:13], v[34:35] op_sel:[0,0,1] op_sel_hi:[1,0,0]
	v_mov_b32_e32 v66, v64
	v_mov_b32_e32 v67, v63
	;; [unrolled: 1-line block ×4, first 2 shown]
	v_pk_add_f32 v[66:67], v[2:3], v[66:67]
	s_mov_b32 s26, 0x3e903f40
	v_pk_add_f32 v[58:59], v[58:59], v[66:67]
	v_pk_mul_f32 v[66:67], v[38:39], s[26:27] op_sel_hi:[1,0]
	s_mov_b32 s28, 0x3f7d64f0
	v_pk_fma_f32 v[68:69], v[36:37], s[18:19], v[66:67] op_sel:[0,0,1] op_sel_hi:[1,0,0] neg_lo:[0,0,1] neg_hi:[0,0,1]
	v_pk_fma_f32 v[66:67], v[36:37], s[18:19], v[66:67] op_sel:[0,0,1] op_sel_hi:[1,0,0]
	v_mov_b32_e32 v70, v68
	v_mov_b32_e32 v71, v67
	v_pk_add_f32 v[58:59], v[70:71], v[58:59]
	v_pk_mul_f32 v[70:71], v[50:51], s[28:29] op_sel_hi:[1,0]
	s_mov_b32 s24, 0x3f0a6770
	v_pk_fma_f32 v[72:73], v[40:41], s[2:3], v[70:71] op_sel:[0,0,1] op_sel_hi:[1,0,0] neg_lo:[0,0,1] neg_hi:[0,0,1]
	v_pk_fma_f32 v[70:71], v[40:41], s[2:3], v[70:71] op_sel:[0,0,1] op_sel_hi:[1,0,0]
	v_mov_b32_e32 v74, v72
	v_mov_b32_e32 v75, v71
	v_pk_add_f32 v[58:59], v[74:75], v[58:59]
	v_pk_mul_f32 v[74:75], v[54:55], s[24:25] op_sel_hi:[1,0]
	v_pk_mul_f32 v[84:85], v[56:57], s[10:11] op_sel_hi:[1,0]
	v_pk_fma_f32 v[76:77], v[60:61], s[16:17], v[74:75] op_sel:[0,0,1] op_sel_hi:[1,0,0] neg_lo:[0,0,1] neg_hi:[0,0,1]
	v_pk_fma_f32 v[74:75], v[60:61], s[16:17], v[74:75] op_sel:[0,0,1] op_sel_hi:[1,0,0]
	v_mov_b32_e32 v78, v76
	v_mov_b32_e32 v79, v75
	v_pk_add_f32 v[58:59], v[78:79], v[58:59]
	v_pk_mul_f32 v[78:79], v[32:33], s[26:27] op_sel_hi:[1,0]
	v_pk_fma_f32 v[86:87], v[52:53], s[2:3], v[84:85] op_sel:[0,0,1] op_sel_hi:[1,0,0] neg_lo:[0,0,1] neg_hi:[0,0,1]
	v_pk_fma_f32 v[84:85], v[52:53], s[2:3], v[84:85] op_sel:[0,0,1] op_sel_hi:[1,0,0]
	v_pk_fma_f32 v[80:81], v[30:31], s[18:19], v[78:79] op_sel:[0,0,1] op_sel_hi:[1,0,0] neg_lo:[0,0,1] neg_hi:[0,0,1]
	v_pk_fma_f32 v[78:79], v[30:31], s[18:19], v[78:79] op_sel:[0,0,1] op_sel_hi:[1,0,0]
	v_mov_b32_e32 v88, v86
	v_mov_b32_e32 v89, v85
	;; [unrolled: 1-line block ×4, first 2 shown]
	v_pk_add_f32 v[88:89], v[2:3], v[88:89]
	s_mov_b32 s26, 0x3f68dda4
	v_pk_add_f32 v[82:83], v[82:83], v[88:89]
	v_pk_mul_f32 v[88:89], v[38:39], s[26:27] op_sel_hi:[1,0]
	v_pk_mul_f32 v[102:103], v[56:57], s[14:15] op_sel_hi:[1,0]
	v_pk_fma_f32 v[90:91], v[36:37], s[0:1], v[88:89] op_sel:[0,0,1] op_sel_hi:[1,0,0] neg_lo:[0,0,1] neg_hi:[0,0,1]
	v_pk_fma_f32 v[88:89], v[36:37], s[0:1], v[88:89] op_sel:[0,0,1] op_sel_hi:[1,0,0]
	v_mov_b32_e32 v92, v90
	v_mov_b32_e32 v93, v89
	v_pk_add_f32 v[82:83], v[92:93], v[82:83]
	v_pk_mul_f32 v[92:93], v[50:51], s[22:23] op_sel_hi:[1,0]
	v_pk_fma_f32 v[104:105], v[52:53], s[12:13], v[102:103] op_sel:[0,0,1] op_sel_hi:[1,0,0] neg_lo:[0,0,1] neg_hi:[0,0,1]
	v_pk_fma_f32 v[94:95], v[40:41], s[16:17], v[92:93] op_sel:[0,0,1] op_sel_hi:[1,0,0] neg_lo:[0,0,1] neg_hi:[0,0,1]
	v_pk_fma_f32 v[92:93], v[40:41], s[16:17], v[92:93] op_sel:[0,0,1] op_sel_hi:[1,0,0]
	v_mov_b32_e32 v96, v94
	v_mov_b32_e32 v97, v93
	v_pk_add_f32 v[82:83], v[96:97], v[82:83]
	v_pk_mul_f32 v[96:97], v[54:55], s[14:15] op_sel_hi:[1,0]
	v_pk_fma_f32 v[102:103], v[52:53], s[12:13], v[102:103] op_sel:[0,0,1] op_sel_hi:[1,0,0]
	v_pk_fma_f32 v[98:99], v[60:61], s[12:13], v[96:97] op_sel:[0,0,1] op_sel_hi:[1,0,0] neg_lo:[0,0,1] neg_hi:[0,0,1]
	v_pk_fma_f32 v[96:97], v[60:61], s[12:13], v[96:97] op_sel:[0,0,1] op_sel_hi:[1,0,0]
	v_mov_b32_e32 v100, v98
	v_mov_b32_e32 v101, v97
	v_pk_add_f32 v[82:83], v[100:101], v[82:83]
	ds_write2_b64 v17, v[58:59], v[82:83] offset0:2 offset1:3
	v_pk_mul_f32 v[58:59], v[32:33], s[28:29] op_sel_hi:[1,0]
	v_mov_b32_e32 v106, v104
	v_pk_fma_f32 v[82:83], v[30:31], s[2:3], v[58:59] op_sel:[0,0,1] op_sel_hi:[1,0,0] neg_lo:[0,0,1] neg_hi:[0,0,1]
	v_pk_fma_f32 v[58:59], v[30:31], s[2:3], v[58:59] op_sel:[0,0,1] op_sel_hi:[1,0,0]
	v_mov_b32_e32 v107, v103
	v_mov_b32_e32 v100, v82
	;; [unrolled: 1-line block ×3, first 2 shown]
	v_pk_add_f32 v[106:107], v[2:3], v[106:107]
	v_pk_mul_f32 v[32:33], v[32:33], s[24:25] op_sel_hi:[1,0]
	v_pk_add_f32 v[100:101], v[100:101], v[106:107]
	v_pk_mul_f32 v[106:107], v[38:39], s[22:23] op_sel_hi:[1,0]
	v_pk_mul_f32 v[56:57], v[56:57], s[20:21] op_sel_hi:[1,0]
	v_pk_fma_f32 v[108:109], v[36:37], s[16:17], v[106:107] op_sel:[0,0,1] op_sel_hi:[1,0,0] neg_lo:[0,0,1] neg_hi:[0,0,1]
	v_pk_fma_f32 v[106:107], v[36:37], s[16:17], v[106:107] op_sel:[0,0,1] op_sel_hi:[1,0,0]
	v_mov_b32_e32 v110, v108
	v_mov_b32_e32 v111, v107
	v_pk_add_f32 v[100:101], v[110:111], v[100:101]
	v_pk_mul_f32 v[110:111], v[50:51], s[20:21] op_sel_hi:[1,0]
	v_mov_b32_e32 v28, v26
	v_pk_fma_f32 v[112:113], v[40:41], s[18:19], v[110:111] op_sel:[0,0,1] op_sel_hi:[1,0,0] neg_lo:[0,0,1] neg_hi:[0,0,1]
	v_pk_fma_f32 v[110:111], v[40:41], s[18:19], v[110:111] op_sel:[0,0,1] op_sel_hi:[1,0,0]
	v_mov_b32_e32 v114, v112
	v_mov_b32_e32 v115, v111
	v_pk_add_f32 v[100:101], v[114:115], v[100:101]
	v_pk_mul_f32 v[114:115], v[54:55], s[26:27] op_sel_hi:[1,0]
	v_mov_b32_e32 v0, v4
	v_pk_fma_f32 v[116:117], v[60:61], s[0:1], v[114:115] op_sel:[0,0,1] op_sel_hi:[1,0,0] neg_lo:[0,0,1] neg_hi:[0,0,1]
	v_pk_fma_f32 v[114:115], v[60:61], s[0:1], v[114:115] op_sel:[0,0,1] op_sel_hi:[1,0,0]
	v_mov_b32_e32 v118, v116
	v_mov_b32_e32 v119, v115
	v_pk_add_f32 v[100:101], v[118:119], v[100:101]
	v_pk_fma_f32 v[118:119], v[30:31], s[16:17], v[32:33] op_sel:[0,0,1] op_sel_hi:[1,0,0] neg_lo:[0,0,1] neg_hi:[0,0,1]
	v_pk_fma_f32 v[30:31], v[30:31], s[16:17], v[32:33] op_sel:[0,0,1] op_sel_hi:[1,0,0]
	v_pk_mul_f32 v[32:33], v[38:39], s[14:15] op_sel_hi:[1,0]
	v_mov_b32_e32 v4, v10
	v_pk_fma_f32 v[38:39], v[36:37], s[12:13], v[32:33] op_sel:[0,0,1] op_sel_hi:[1,0,0] neg_lo:[0,0,1] neg_hi:[0,0,1]
	v_pk_fma_f32 v[32:33], v[36:37], s[12:13], v[32:33] op_sel:[0,0,1] op_sel_hi:[1,0,0]
	v_pk_mul_f32 v[36:37], v[50:51], s[26:27] op_sel_hi:[1,0]
	v_pk_add_f32 v[10:11], v[2:3], v[28:29]
	v_pk_fma_f32 v[50:51], v[40:41], s[0:1], v[36:37] op_sel:[0,0,1] op_sel_hi:[1,0,0] neg_lo:[0,0,1] neg_hi:[0,0,1]
	v_pk_fma_f32 v[36:37], v[40:41], s[0:1], v[36:37] op_sel:[0,0,1] op_sel_hi:[1,0,0]
	v_pk_mul_f32 v[40:41], v[54:55], s[10:11] op_sel_hi:[1,0]
	v_mov_b32_e32 v6, v8
	v_pk_fma_f32 v[54:55], v[60:61], s[2:3], v[40:41] op_sel:[0,0,1] op_sel_hi:[1,0,0] neg_lo:[0,0,1] neg_hi:[0,0,1]
	v_pk_fma_f32 v[40:41], v[60:61], s[2:3], v[40:41] op_sel:[0,0,1] op_sel_hi:[1,0,0]
	v_pk_fma_f32 v[60:61], v[52:53], s[18:19], v[56:57] op_sel:[0,0,1] op_sel_hi:[1,0,0] neg_lo:[0,0,1] neg_hi:[0,0,1]
	v_pk_fma_f32 v[52:53], v[52:53], s[18:19], v[56:57] op_sel:[0,0,1] op_sel_hi:[1,0,0]
	v_mov_b32_e32 v120, v60
	v_mov_b32_e32 v121, v53
	;; [unrolled: 1-line block ×4, first 2 shown]
	v_pk_add_f32 v[120:121], v[2:3], v[120:121]
	v_mov_b32_e32 v53, v61
	v_pk_add_f32 v[56:57], v[56:57], v[120:121]
	v_mov_b32_e32 v120, v38
	v_mov_b32_e32 v121, v33
	;; [unrolled: 1-line block ×4, first 2 shown]
	v_pk_add_f32 v[38:39], v[2:3], v[52:53]
	v_pk_add_f32 v[0:1], v[0:1], v[10:11]
	;; [unrolled: 1-line block ×3, first 2 shown]
	v_mov_b32_e32 v103, v105
	v_pk_add_f32 v[0:1], v[6:7], v[0:1]
	v_mov_b32_e32 v85, v87
	v_mov_b32_e32 v63, v65
	v_pk_add_f32 v[30:31], v[32:33], v[30:31]
	v_mov_b32_e32 v59, v83
	v_pk_add_f32 v[32:33], v[2:3], v[102:103]
	v_pk_add_f32 v[0:1], v[4:5], v[0:1]
	v_mov_b32_e32 v79, v81
	v_pk_add_f32 v[4:5], v[2:3], v[84:85]
	v_mov_b32_e32 v35, v43
	;; [unrolled: 2-line block ×5, first 2 shown]
	v_pk_add_f32 v[2:3], v[34:35], v[2:3]
	v_pk_add_f32 v[56:57], v[120:121], v[56:57]
	v_mov_b32_e32 v120, v50
	v_mov_b32_e32 v121, v37
	;; [unrolled: 1-line block ×4, first 2 shown]
	v_pk_add_f32 v[32:33], v[106:107], v[32:33]
	v_mov_b32_e32 v93, v95
	v_pk_add_f32 v[4:5], v[88:89], v[4:5]
	v_mov_b32_e32 v71, v73
	v_pk_add_f32 v[2:3], v[66:67], v[2:3]
	v_pk_add_f32 v[56:57], v[120:121], v[56:57]
	v_mov_b32_e32 v120, v54
	v_mov_b32_e32 v121, v41
	;; [unrolled: 1-line block ×3, first 2 shown]
	v_pk_add_f32 v[30:31], v[36:37], v[30:31]
	v_mov_b32_e32 v115, v117
	v_pk_add_f32 v[32:33], v[110:111], v[32:33]
	v_mov_b32_e32 v97, v99
	;; [unrolled: 2-line block ×3, first 2 shown]
	v_pk_add_f32 v[2:3], v[70:71], v[2:3]
	v_pk_add_f32 v[56:57], v[120:121], v[56:57]
	;; [unrolled: 1-line block ×4, first 2 shown]
	v_mov_b32_e32 v8, v44
	v_pk_add_f32 v[4:5], v[96:97], v[4:5]
	v_pk_add_f32 v[2:3], v[74:75], v[2:3]
	v_lshl_add_u32 v43, v20, 3, v46
	ds_write2_b64 v17, v[100:101], v[56:57] offset0:4 offset1:5
	ds_write2_b64 v17, v[30:31], v[32:33] offset0:6 offset1:7
	v_pk_add_f32 v[0:1], v[8:9], v[0:1]
	ds_write2_b64 v17, v[4:5], v[2:3] offset0:8 offset1:9
	ds_write_b64 v17, v[0:1] offset:80
	s_waitcnt lgkmcnt(0)
	; wave barrier
	s_waitcnt lgkmcnt(0)
	ds_read_b64 v[26:27], v47
	ds_read2_b64 v[4:7], v49 offset0:11 offset1:13
	ds_read2_b64 v[8:11], v49 offset0:15 offset1:17
	v_lshl_add_u32 v45, v24, 3, v46
	v_lshl_add_u32 v44, v22, 3, v46
	;; [unrolled: 1-line block ×3, first 2 shown]
	ds_read_b64 v[32:33], v43
	ds_read_b64 v[38:39], v42
	;; [unrolled: 1-line block ×4, first 2 shown]
	ds_read_b64 v[40:41], v49 offset:152
	v_cmp_ne_u32_e64 s[2:3], 0, v16
	v_cmp_eq_u32_e64 s[0:1], 0, v16
	v_mov_b64_e32 v[30:31], 0
	s_and_saveexec_b64 s[10:11], s[0:1]
	s_cbranch_execz .LBB0_15
; %bb.14:
	ds_read2_b64 v[0:3], v46 offset0:10 offset1:21
	v_mov_b64_e32 v[30:31], 10
.LBB0_15:
	s_or_b64 exec, exec, s[10:11]
	v_mov_b32_e32 v17, 0
	v_mov_b32_e32 v19, v17
	;; [unrolled: 1-line block ×5, first 2 shown]
	v_lshl_add_u64 v[18:19], v[18:19], 3, s[8:9]
	v_lshl_add_u64 v[28:29], v[16:17], 3, s[8:9]
	;; [unrolled: 1-line block ×5, first 2 shown]
	global_load_dwordx2 v[50:51], v[18:19], off
	global_load_dwordx2 v[52:53], v[20:21], off
	;; [unrolled: 1-line block ×5, first 2 shown]
	s_waitcnt lgkmcnt(0)
	; wave barrier
	s_waitcnt vmcnt(4) lgkmcnt(0)
	v_pk_mul_f32 v[60:61], v[50:51], v[40:41] op_sel:[0,1]
	s_waitcnt vmcnt(3)
	v_pk_mul_f32 v[62:63], v[52:53], v[10:11] op_sel:[0,1]
	s_waitcnt vmcnt(2)
	;; [unrolled: 2-line block ×4, first 2 shown]
	v_pk_mul_f32 v[68:69], v[58:59], v[4:5] op_sel:[0,1]
	v_pk_fma_f32 v[70:71], v[50:51], v[40:41], v[60:61] op_sel:[0,0,1] op_sel_hi:[1,1,0] neg_lo:[0,0,1] neg_hi:[0,0,1]
	v_pk_fma_f32 v[40:41], v[50:51], v[40:41], v[60:61] op_sel:[0,0,1] op_sel_hi:[1,0,0]
	v_pk_fma_f32 v[50:51], v[52:53], v[10:11], v[62:63] op_sel:[0,0,1] op_sel_hi:[1,1,0] neg_lo:[0,0,1] neg_hi:[0,0,1]
	v_pk_fma_f32 v[10:11], v[52:53], v[10:11], v[62:63] op_sel:[0,0,1] op_sel_hi:[1,0,0]
	;; [unrolled: 2-line block ×5, first 2 shown]
	v_mov_b32_e32 v71, v41
	v_mov_b32_e32 v57, v5
	;; [unrolled: 1-line block ×5, first 2 shown]
	v_pk_add_f32 v[40:41], v[26:27], v[56:57] neg_lo:[0,1] neg_hi:[0,1]
	v_pk_add_f32 v[4:5], v[38:39], v[70:71] neg_lo:[0,1] neg_hi:[0,1]
	;; [unrolled: 1-line block ×5, first 2 shown]
	v_pk_fma_f32 v[26:27], v[26:27], 2.0, v[40:41] op_sel_hi:[1,0,1] neg_lo:[0,0,1] neg_hi:[0,0,1]
	v_pk_fma_f32 v[38:39], v[38:39], 2.0, v[4:5] op_sel_hi:[1,0,1] neg_lo:[0,0,1] neg_hi:[0,0,1]
	;; [unrolled: 1-line block ×5, first 2 shown]
	ds_write2_b64 v49, v[26:27], v[40:41] offset1:11
	ds_write2_b64 v45, v[34:35], v[10:11] offset1:11
	;; [unrolled: 1-line block ×5, first 2 shown]
	s_and_saveexec_b64 s[10:11], s[0:1]
	s_cbranch_execz .LBB0_17
; %bb.16:
	v_lshlrev_b32_e32 v4, 3, v30
	global_load_dwordx2 v[4:5], v4, s[8:9]
	v_mov_b32_e32 v6, v3
	s_waitcnt vmcnt(0)
	v_pk_mul_f32 v[6:7], v[6:7], v[4:5] op_sel_hi:[0,1]
	v_pk_fma_f32 v[8:9], v[2:3], v[4:5], v[6:7] op_sel:[0,0,1] op_sel_hi:[1,1,0] neg_lo:[0,0,1] neg_hi:[0,0,1]
	v_pk_fma_f32 v[2:3], v[2:3], v[4:5], v[6:7] op_sel:[0,0,1] op_sel_hi:[0,1,0]
	v_mov_b32_e32 v9, v3
	v_pk_add_f32 v[2:3], v[0:1], v[8:9] neg_lo:[0,1] neg_hi:[0,1]
	s_nop 0
	v_pk_fma_f32 v[0:1], v[0:1], 2.0, v[2:3] op_sel_hi:[1,0,1] neg_lo:[0,0,1] neg_hi:[0,0,1]
	ds_write2_b64 v46, v[0:1], v[2:3] offset0:10 offset1:21
.LBB0_17:
	s_or_b64 exec, exec, s[10:11]
	s_waitcnt lgkmcnt(0)
	; wave barrier
	s_waitcnt lgkmcnt(0)
	ds_read_b64 v[4:5], v47
	v_sub_u32_e32 v6, v46, v48
                                        ; implicit-def: $vgpr2_vgpr3
                                        ; implicit-def: $vgpr1
	s_and_saveexec_b64 s[10:11], s[2:3]
	s_xor_b64 s[2:3], exec, s[10:11]
	s_cbranch_execz .LBB0_19
; %bb.18:
	global_load_dwordx2 v[2:3], v[28:29], off offset:88
	ds_read_b64 v[0:1], v6 offset:176
	v_mov_b32_e32 v9, 0.5
	v_mov_b32_e32 v10, v9
	s_waitcnt lgkmcnt(0)
	v_pk_add_f32 v[26:27], v[0:1], v[4:5]
	v_pk_add_f32 v[0:1], v[4:5], v[0:1] neg_lo:[0,1] neg_hi:[0,1]
	v_mov_b32_e32 v4, v27
	v_mov_b32_e32 v5, v0
	v_pk_mul_f32 v[4:5], v[4:5], 0.5 op_sel_hi:[1,0]
	s_waitcnt vmcnt(0)
	v_mov_b32_e32 v8, v3
	v_mov_b32_e32 v0, v5
	;; [unrolled: 1-line block ×4, first 2 shown]
	v_pk_mul_f32 v[0:1], v[8:9], v[0:1]
	v_pk_mul_f32 v[28:29], v[2:3], v[4:5] op_sel_hi:[0,1]
	v_pk_fma_f32 v[8:9], v[26:27], v[10:11], v[0:1]
	v_pk_fma_f32 v[10:11], v[26:27], v[10:11], v[0:1] neg_lo:[0,0,1] neg_hi:[0,0,1]
	v_add_f32_e32 v0, v28, v8
	v_sub_f32_e32 v1, v9, v29
	ds_write_b32 v47, v0
	v_pk_fma_f32 v[2:3], v[2:3], v[4:5], v[10:11] op_sel_hi:[0,1,1] neg_lo:[1,0,0] neg_hi:[1,0,0]
                                        ; implicit-def: $vgpr4_vgpr5
.LBB0_19:
	s_andn2_saveexec_b64 s[2:3], s[2:3]
	s_cbranch_execz .LBB0_21
; %bb.20:
	ds_read_b32 v2, v46 offset:92
	s_waitcnt lgkmcnt(1)
	v_mov_b32_e32 v0, v5
	v_add_f32_e32 v1, v5, v4
	ds_write_b32 v47, v1
	v_pk_add_f32 v[0:1], v[4:5], v[0:1] neg_lo:[0,1] neg_hi:[0,1]
	s_waitcnt lgkmcnt(1)
	v_xor_b32_e32 v1, 0x80000000, v2
	ds_write_b32 v46, v1 offset:92
	v_mov_b32_e32 v1, 0
	v_mov_b64_e32 v[2:3], v[0:1]
.LBB0_21:
	s_or_b64 exec, exec, s[2:3]
	s_waitcnt lgkmcnt(0)
	global_load_dwordx2 v[4:5], v[24:25], off offset:88
	global_load_dwordx2 v[8:9], v[22:23], off offset:88
	;; [unrolled: 1-line block ×4, first 2 shown]
	ds_write_b32 v47, v1 offset:4
	ds_write_b64 v6, v[2:3] offset:176
	ds_read_b64 v[0:1], v45
	ds_read_b64 v[2:3], v6 offset:160
	v_mov_b32_e32 v19, 0.5
	v_mov_b32_e32 v20, v19
	s_waitcnt lgkmcnt(0)
	v_pk_add_f32 v[22:23], v[0:1], v[2:3]
	v_pk_add_f32 v[0:1], v[0:1], v[2:3] neg_lo:[0,1] neg_hi:[0,1]
	v_mov_b32_e32 v2, v23
	v_mov_b32_e32 v3, v0
	v_pk_mul_f32 v[2:3], v[2:3], 0.5 op_sel_hi:[1,0]
	s_waitcnt vmcnt(3)
	v_mov_b32_e32 v18, v5
	v_mov_b32_e32 v0, v3
	;; [unrolled: 1-line block ×4, first 2 shown]
	v_pk_mul_f32 v[0:1], v[18:19], v[0:1]
	s_waitcnt vmcnt(2)
	v_mov_b32_e32 v18, v9
	v_pk_fma_f32 v[24:25], v[22:23], v[20:21], v[0:1]
	v_pk_fma_f32 v[0:1], v[22:23], v[20:21], v[0:1] neg_lo:[0,0,1] neg_hi:[0,0,1]
	v_pk_fma_f32 v[20:21], v[4:5], v[2:3], v[24:25]
	v_pk_fma_f32 v[22:23], v[4:5], v[2:3], v[24:25] op_sel_hi:[0,1,1] neg_lo:[1,0,0] neg_hi:[1,0,0]
	v_mov_b32_e32 v21, v23
	v_pk_fma_f32 v[0:1], v[4:5], v[2:3], v[0:1] op_sel_hi:[0,1,1] neg_lo:[1,0,0] neg_hi:[1,0,0]
	ds_write_b64 v45, v[20:21]
	ds_write_b64 v6, v[0:1] offset:160
	ds_read_b64 v[0:1], v44
	ds_read_b64 v[2:3], v6 offset:144
	v_mov_b32_e32 v4, v19
	v_mov_b32_e32 v5, v9
	s_waitcnt lgkmcnt(0)
	v_pk_add_f32 v[20:21], v[0:1], v[2:3]
	v_pk_add_f32 v[0:1], v[0:1], v[2:3] neg_lo:[0,1] neg_hi:[0,1]
	v_mov_b32_e32 v2, v21
	v_mov_b32_e32 v3, v0
	v_pk_mul_f32 v[2:3], v[2:3], 0.5 op_sel_hi:[1,0]
	s_nop 0
	v_mov_b32_e32 v0, v3
	v_mov_b32_e32 v21, v2
	v_pk_mul_f32 v[0:1], v[18:19], v[0:1]
	s_waitcnt vmcnt(1)
	v_mov_b32_e32 v18, v11
	v_pk_fma_f32 v[22:23], v[20:21], v[4:5], v[0:1]
	v_pk_fma_f32 v[0:1], v[20:21], v[4:5], v[0:1] neg_lo:[0,0,1] neg_hi:[0,0,1]
	v_pk_fma_f32 v[4:5], v[8:9], v[2:3], v[22:23]
	v_pk_fma_f32 v[20:21], v[8:9], v[2:3], v[22:23] op_sel_hi:[0,1,1] neg_lo:[1,0,0] neg_hi:[1,0,0]
	v_mov_b32_e32 v5, v21
	v_pk_fma_f32 v[0:1], v[8:9], v[2:3], v[0:1] op_sel_hi:[0,1,1] neg_lo:[1,0,0] neg_hi:[1,0,0]
	ds_write_b64 v44, v[4:5]
	ds_write_b64 v6, v[0:1] offset:144
	ds_read_b64 v[0:1], v43
	ds_read_b64 v[2:3], v6 offset:128
	v_mov_b32_e32 v4, v19
	v_mov_b32_e32 v5, v11
	s_waitcnt lgkmcnt(0)
	v_pk_add_f32 v[8:9], v[0:1], v[2:3]
	v_pk_add_f32 v[0:1], v[0:1], v[2:3] neg_lo:[0,1] neg_hi:[0,1]
	v_mov_b32_e32 v2, v9
	v_mov_b32_e32 v3, v0
	v_pk_mul_f32 v[2:3], v[2:3], 0.5 op_sel_hi:[1,0]
	s_nop 0
	v_mov_b32_e32 v0, v3
	v_mov_b32_e32 v9, v2
	;; [unrolled: 24-line block ×3, first 2 shown]
	v_pk_mul_f32 v[0:1], v[18:19], v[0:1]
	s_nop 0
	v_pk_fma_f32 v[10:11], v[8:9], v[4:5], v[0:1]
	v_pk_fma_f32 v[0:1], v[8:9], v[4:5], v[0:1] neg_lo:[0,0,1] neg_hi:[0,0,1]
	v_pk_fma_f32 v[4:5], v[26:27], v[2:3], v[10:11]
	v_pk_fma_f32 v[8:9], v[26:27], v[2:3], v[10:11] op_sel_hi:[0,1,1] neg_lo:[1,0,0] neg_hi:[1,0,0]
	v_mov_b32_e32 v5, v9
	v_pk_fma_f32 v[0:1], v[26:27], v[2:3], v[0:1] op_sel_hi:[0,1,1] neg_lo:[1,0,0] neg_hi:[1,0,0]
	ds_write_b64 v42, v[4:5]
	ds_write_b64 v6, v[0:1] offset:112
	s_and_saveexec_b64 s[2:3], s[0:1]
	s_cbranch_execz .LBB0_23
; %bb.22:
	ds_read2_b64 v[0:3], v46 offset0:10 offset1:12
	s_load_dwordx2 s[0:1], s[8:9], 0xa8
	s_waitcnt lgkmcnt(0)
	v_pk_add_f32 v[4:5], v[0:1], v[2:3] neg_lo:[0,1] neg_hi:[0,1]
	v_pk_add_f32 v[0:1], v[0:1], v[2:3]
	v_mov_b32_e32 v2, v4
	v_mov_b32_e32 v3, v1
	v_pk_mul_f32 v[2:3], v[2:3], 0.5 op_sel_hi:[1,0]
	v_mov_b32_e32 v1, v5
	v_pk_mul_f32 v[6:7], s[0:1], v[2:3] op_sel:[1,0]
	v_pk_mul_f32 v[4:5], v[0:1], 0.5 op_sel_hi:[1,0]
	v_pk_fma_f32 v[0:1], v[0:1], 0.5, v[6:7] op_sel_hi:[1,0,1]
	v_pk_mul_f32 v[2:3], s[0:1], v[2:3] op_sel_hi:[0,1]
	v_pk_add_f32 v[8:9], v[0:1], v[2:3] op_sel:[0,1] op_sel_hi:[1,0]
	v_pk_add_f32 v[0:1], v[0:1], v[2:3] op_sel:[0,1] op_sel_hi:[1,0] neg_lo:[0,1] neg_hi:[0,1]
	s_nop 0
	v_mov_b32_e32 v9, v1
	v_mov_b32_e32 v0, v4
	v_mov_b32_e32 v1, v7
	v_mov_b32_e32 v7, v5
	v_pk_add_f32 v[0:1], v[0:1], v[6:7] neg_lo:[0,1] neg_hi:[0,1]
	s_nop 0
	v_pk_add_f32 v[0:1], v[0:1], v[2:3] op_sel:[0,1] op_sel_hi:[1,0] neg_lo:[0,1] neg_hi:[0,1]
	ds_write2_b64 v46, v[8:9], v[0:1] offset0:10 offset1:12
.LBB0_23:
	s_or_b64 exec, exec, s[2:3]
	s_waitcnt lgkmcnt(0)
	; wave barrier
	s_waitcnt lgkmcnt(0)
	s_and_saveexec_b64 s[0:1], vcc
	s_cbranch_execz .LBB0_26
; %bb.24:
	v_mul_lo_u32 v2, s5, v14
	v_mul_lo_u32 v3, s4, v15
	v_mad_u64_u32 v[0:1], s[0:1], s4, v14, 0
	v_add3_u32 v1, v1, v3, v2
	v_lshl_add_u32 v2, v16, 3, v46
	ds_read2_b64 v[4:7], v2 offset1:2
	v_lshl_add_u64 v[0:1], v[0:1], 3, s[6:7]
	v_mov_b32_e32 v17, 0
	v_lshl_add_u64 v[0:1], v[12:13], 3, v[0:1]
	v_lshl_add_u64 v[12:13], v[16:17], 3, v[0:1]
	ds_read2_b64 v[8:11], v2 offset0:4 offset1:6
	s_waitcnt lgkmcnt(1)
	global_store_dwordx2 v[12:13], v[4:5], off
	v_add_u32_e32 v4, 2, v16
	v_mov_b32_e32 v5, v17
	v_lshl_add_u64 v[4:5], v[4:5], 3, v[0:1]
	global_store_dwordx2 v[4:5], v[6:7], off
	v_add_u32_e32 v4, 4, v16
	v_mov_b32_e32 v5, v17
	v_lshl_add_u64 v[4:5], v[4:5], 3, v[0:1]
	s_waitcnt lgkmcnt(0)
	global_store_dwordx2 v[4:5], v[8:9], off
	v_add_u32_e32 v4, 6, v16
	v_mov_b32_e32 v5, v17
	v_lshl_add_u64 v[8:9], v[4:5], 3, v[0:1]
	ds_read2_b64 v[4:7], v2 offset0:8 offset1:10
	global_store_dwordx2 v[8:9], v[10:11], off
	v_add_u32_e32 v8, 8, v16
	v_mov_b32_e32 v9, v17
	v_lshl_add_u64 v[8:9], v[8:9], 3, v[0:1]
	s_waitcnt lgkmcnt(0)
	global_store_dwordx2 v[8:9], v[4:5], off
	ds_read2_b64 v[8:11], v2 offset0:12 offset1:14
	v_add_u32_e32 v4, 10, v16
	v_mov_b32_e32 v5, v17
	v_lshl_add_u64 v[4:5], v[4:5], 3, v[0:1]
	global_store_dwordx2 v[4:5], v[6:7], off
	v_add_u32_e32 v4, 12, v16
	v_mov_b32_e32 v5, v17
	v_lshl_add_u64 v[4:5], v[4:5], 3, v[0:1]
	s_waitcnt lgkmcnt(0)
	global_store_dwordx2 v[4:5], v[8:9], off
	v_add_u32_e32 v4, 14, v16
	v_mov_b32_e32 v5, v17
	v_lshl_add_u64 v[8:9], v[4:5], 3, v[0:1]
	ds_read2_b64 v[4:7], v2 offset0:16 offset1:18
	global_store_dwordx2 v[8:9], v[10:11], off
	v_add_u32_e32 v8, 16, v16
	v_mov_b32_e32 v9, v17
	v_lshl_add_u64 v[8:9], v[8:9], 3, v[0:1]
	s_waitcnt lgkmcnt(0)
	global_store_dwordx2 v[8:9], v[4:5], off
	ds_read_b64 v[8:9], v2 offset:160
	v_add_u32_e32 v4, 18, v16
	v_mov_b32_e32 v5, v17
	v_lshl_add_u64 v[4:5], v[4:5], 3, v[0:1]
	global_store_dwordx2 v[4:5], v[6:7], off
	v_add_u32_e32 v4, 20, v16
	v_mov_b32_e32 v5, v17
	v_lshl_add_u64 v[4:5], v[4:5], 3, v[0:1]
	v_cmp_eq_u32_e32 vcc, 1, v16
	s_waitcnt lgkmcnt(0)
	global_store_dwordx2 v[4:5], v[8:9], off
	s_and_b64 exec, exec, vcc
	s_cbranch_execz .LBB0_26
; %bb.25:
	ds_read_b64 v[2:3], v2 offset:168
	s_waitcnt lgkmcnt(0)
	global_store_dwordx2 v[0:1], v[2:3], off offset:176
.LBB0_26:
	s_endpgm
	.section	.rodata,"a",@progbits
	.p2align	6, 0x0
	.amdhsa_kernel fft_rtc_fwd_len22_factors_11_2_wgs_64_tpt_2_halfLds_sp_op_CI_CI_unitstride_sbrr_R2C_dirReg
		.amdhsa_group_segment_fixed_size 0
		.amdhsa_private_segment_fixed_size 0
		.amdhsa_kernarg_size 104
		.amdhsa_user_sgpr_count 2
		.amdhsa_user_sgpr_dispatch_ptr 0
		.amdhsa_user_sgpr_queue_ptr 0
		.amdhsa_user_sgpr_kernarg_segment_ptr 1
		.amdhsa_user_sgpr_dispatch_id 0
		.amdhsa_user_sgpr_kernarg_preload_length 0
		.amdhsa_user_sgpr_kernarg_preload_offset 0
		.amdhsa_user_sgpr_private_segment_size 0
		.amdhsa_uses_dynamic_stack 0
		.amdhsa_enable_private_segment 0
		.amdhsa_system_sgpr_workgroup_id_x 1
		.amdhsa_system_sgpr_workgroup_id_y 0
		.amdhsa_system_sgpr_workgroup_id_z 0
		.amdhsa_system_sgpr_workgroup_info 0
		.amdhsa_system_vgpr_workitem_id 0
		.amdhsa_next_free_vgpr 122
		.amdhsa_next_free_sgpr 30
		.amdhsa_accum_offset 124
		.amdhsa_reserve_vcc 1
		.amdhsa_float_round_mode_32 0
		.amdhsa_float_round_mode_16_64 0
		.amdhsa_float_denorm_mode_32 3
		.amdhsa_float_denorm_mode_16_64 3
		.amdhsa_dx10_clamp 1
		.amdhsa_ieee_mode 1
		.amdhsa_fp16_overflow 0
		.amdhsa_tg_split 0
		.amdhsa_exception_fp_ieee_invalid_op 0
		.amdhsa_exception_fp_denorm_src 0
		.amdhsa_exception_fp_ieee_div_zero 0
		.amdhsa_exception_fp_ieee_overflow 0
		.amdhsa_exception_fp_ieee_underflow 0
		.amdhsa_exception_fp_ieee_inexact 0
		.amdhsa_exception_int_div_zero 0
	.end_amdhsa_kernel
	.text
.Lfunc_end0:
	.size	fft_rtc_fwd_len22_factors_11_2_wgs_64_tpt_2_halfLds_sp_op_CI_CI_unitstride_sbrr_R2C_dirReg, .Lfunc_end0-fft_rtc_fwd_len22_factors_11_2_wgs_64_tpt_2_halfLds_sp_op_CI_CI_unitstride_sbrr_R2C_dirReg
                                        ; -- End function
	.section	.AMDGPU.csdata,"",@progbits
; Kernel info:
; codeLenInByte = 5352
; NumSgprs: 36
; NumVgprs: 122
; NumAgprs: 0
; TotalNumVgprs: 122
; ScratchSize: 0
; MemoryBound: 0
; FloatMode: 240
; IeeeMode: 1
; LDSByteSize: 0 bytes/workgroup (compile time only)
; SGPRBlocks: 4
; VGPRBlocks: 15
; NumSGPRsForWavesPerEU: 36
; NumVGPRsForWavesPerEU: 122
; AccumOffset: 124
; Occupancy: 4
; WaveLimiterHint : 1
; COMPUTE_PGM_RSRC2:SCRATCH_EN: 0
; COMPUTE_PGM_RSRC2:USER_SGPR: 2
; COMPUTE_PGM_RSRC2:TRAP_HANDLER: 0
; COMPUTE_PGM_RSRC2:TGID_X_EN: 1
; COMPUTE_PGM_RSRC2:TGID_Y_EN: 0
; COMPUTE_PGM_RSRC2:TGID_Z_EN: 0
; COMPUTE_PGM_RSRC2:TIDIG_COMP_CNT: 0
; COMPUTE_PGM_RSRC3_GFX90A:ACCUM_OFFSET: 30
; COMPUTE_PGM_RSRC3_GFX90A:TG_SPLIT: 0
	.text
	.p2alignl 6, 3212836864
	.fill 256, 4, 3212836864
	.type	__hip_cuid_e1d2b7721c609169,@object ; @__hip_cuid_e1d2b7721c609169
	.section	.bss,"aw",@nobits
	.globl	__hip_cuid_e1d2b7721c609169
__hip_cuid_e1d2b7721c609169:
	.byte	0                               ; 0x0
	.size	__hip_cuid_e1d2b7721c609169, 1

	.ident	"AMD clang version 19.0.0git (https://github.com/RadeonOpenCompute/llvm-project roc-6.4.0 25133 c7fe45cf4b819c5991fe208aaa96edf142730f1d)"
	.section	".note.GNU-stack","",@progbits
	.addrsig
	.addrsig_sym __hip_cuid_e1d2b7721c609169
	.amdgpu_metadata
---
amdhsa.kernels:
  - .agpr_count:     0
    .args:
      - .actual_access:  read_only
        .address_space:  global
        .offset:         0
        .size:           8
        .value_kind:     global_buffer
      - .offset:         8
        .size:           8
        .value_kind:     by_value
      - .actual_access:  read_only
        .address_space:  global
        .offset:         16
        .size:           8
        .value_kind:     global_buffer
      - .actual_access:  read_only
        .address_space:  global
        .offset:         24
        .size:           8
        .value_kind:     global_buffer
      - .actual_access:  read_only
        .address_space:  global
        .offset:         32
        .size:           8
        .value_kind:     global_buffer
      - .offset:         40
        .size:           8
        .value_kind:     by_value
      - .actual_access:  read_only
        .address_space:  global
        .offset:         48
        .size:           8
        .value_kind:     global_buffer
      - .actual_access:  read_only
        .address_space:  global
        .offset:         56
        .size:           8
        .value_kind:     global_buffer
      - .offset:         64
        .size:           4
        .value_kind:     by_value
      - .actual_access:  read_only
        .address_space:  global
        .offset:         72
        .size:           8
        .value_kind:     global_buffer
      - .actual_access:  read_only
        .address_space:  global
        .offset:         80
        .size:           8
        .value_kind:     global_buffer
      - .actual_access:  read_only
        .address_space:  global
        .offset:         88
        .size:           8
        .value_kind:     global_buffer
      - .actual_access:  write_only
        .address_space:  global
        .offset:         96
        .size:           8
        .value_kind:     global_buffer
    .group_segment_fixed_size: 0
    .kernarg_segment_align: 8
    .kernarg_segment_size: 104
    .language:       OpenCL C
    .language_version:
      - 2
      - 0
    .max_flat_workgroup_size: 64
    .name:           fft_rtc_fwd_len22_factors_11_2_wgs_64_tpt_2_halfLds_sp_op_CI_CI_unitstride_sbrr_R2C_dirReg
    .private_segment_fixed_size: 0
    .sgpr_count:     36
    .sgpr_spill_count: 0
    .symbol:         fft_rtc_fwd_len22_factors_11_2_wgs_64_tpt_2_halfLds_sp_op_CI_CI_unitstride_sbrr_R2C_dirReg.kd
    .uniform_work_group_size: 1
    .uses_dynamic_stack: false
    .vgpr_count:     122
    .vgpr_spill_count: 0
    .wavefront_size: 64
amdhsa.target:   amdgcn-amd-amdhsa--gfx950
amdhsa.version:
  - 1
  - 2
...

	.end_amdgpu_metadata
